;; amdgpu-corpus repo=ROCm/rocFFT kind=compiled arch=gfx1100 opt=O3
	.text
	.amdgcn_target "amdgcn-amd-amdhsa--gfx1100"
	.amdhsa_code_object_version 6
	.protected	fft_rtc_fwd_len160_factors_16_10_wgs_256_tpt_16_halfLds_half_ip_CI_sbrr_dirReg ; -- Begin function fft_rtc_fwd_len160_factors_16_10_wgs_256_tpt_16_halfLds_half_ip_CI_sbrr_dirReg
	.globl	fft_rtc_fwd_len160_factors_16_10_wgs_256_tpt_16_halfLds_half_ip_CI_sbrr_dirReg
	.p2align	8
	.type	fft_rtc_fwd_len160_factors_16_10_wgs_256_tpt_16_halfLds_half_ip_CI_sbrr_dirReg,@function
fft_rtc_fwd_len160_factors_16_10_wgs_256_tpt_16_halfLds_half_ip_CI_sbrr_dirReg: ; @fft_rtc_fwd_len160_factors_16_10_wgs_256_tpt_16_halfLds_half_ip_CI_sbrr_dirReg
; %bb.0:
	s_clause 0x2
	s_load_b64 s[12:13], s[0:1], 0x18
	s_load_b128 s[4:7], s[0:1], 0x0
	s_load_b64 s[10:11], s[0:1], 0x50
	v_lshrrev_b32_e32 v10, 4, v0
	v_mov_b32_e32 v4, 0
	v_mov_b32_e32 v2, 0
	;; [unrolled: 1-line block ×3, first 2 shown]
	s_delay_alu instid0(VALU_DEP_4) | instskip(NEXT) | instid1(VALU_DEP_4)
	v_lshl_or_b32 v6, s15, 4, v10
	v_mov_b32_e32 v7, v4
	s_waitcnt lgkmcnt(0)
	s_load_b64 s[8:9], s[12:13], 0x0
	v_cmp_lt_u64_e64 s2, s[6:7], 2
	s_delay_alu instid0(VALU_DEP_1)
	s_and_b32 vcc_lo, exec_lo, s2
	s_cbranch_vccnz .LBB0_8
; %bb.1:
	s_load_b64 s[2:3], s[0:1], 0x10
	v_mov_b32_e32 v2, 0
	s_add_u32 s14, s12, 8
	v_mov_b32_e32 v3, 0
	s_addc_u32 s15, s13, 0
	s_mov_b64 s[18:19], 1
	s_waitcnt lgkmcnt(0)
	s_add_u32 s16, s2, 8
	s_addc_u32 s17, s3, 0
.LBB0_2:                                ; =>This Inner Loop Header: Depth=1
	s_load_b64 s[20:21], s[16:17], 0x0
                                        ; implicit-def: $vgpr8_vgpr9
	s_mov_b32 s2, exec_lo
	s_waitcnt lgkmcnt(0)
	v_or_b32_e32 v5, s21, v7
	s_delay_alu instid0(VALU_DEP_1)
	v_cmpx_ne_u64_e32 0, v[4:5]
	s_xor_b32 s3, exec_lo, s2
	s_cbranch_execz .LBB0_4
; %bb.3:                                ;   in Loop: Header=BB0_2 Depth=1
	v_cvt_f32_u32_e32 v1, s20
	v_cvt_f32_u32_e32 v5, s21
	s_sub_u32 s2, 0, s20
	s_subb_u32 s22, 0, s21
	s_delay_alu instid0(VALU_DEP_1) | instskip(NEXT) | instid1(VALU_DEP_1)
	v_fmac_f32_e32 v1, 0x4f800000, v5
	v_rcp_f32_e32 v1, v1
	s_waitcnt_depctr 0xfff
	v_mul_f32_e32 v1, 0x5f7ffffc, v1
	s_delay_alu instid0(VALU_DEP_1) | instskip(NEXT) | instid1(VALU_DEP_1)
	v_mul_f32_e32 v5, 0x2f800000, v1
	v_trunc_f32_e32 v5, v5
	s_delay_alu instid0(VALU_DEP_1) | instskip(SKIP_1) | instid1(VALU_DEP_2)
	v_fmac_f32_e32 v1, 0xcf800000, v5
	v_cvt_u32_f32_e32 v5, v5
	v_cvt_u32_f32_e32 v1, v1
	s_delay_alu instid0(VALU_DEP_2) | instskip(NEXT) | instid1(VALU_DEP_2)
	v_mul_lo_u32 v8, s2, v5
	v_mul_hi_u32 v9, s2, v1
	v_mul_lo_u32 v11, s22, v1
	s_delay_alu instid0(VALU_DEP_2) | instskip(SKIP_1) | instid1(VALU_DEP_2)
	v_add_nc_u32_e32 v8, v9, v8
	v_mul_lo_u32 v9, s2, v1
	v_add_nc_u32_e32 v8, v8, v11
	s_delay_alu instid0(VALU_DEP_2) | instskip(NEXT) | instid1(VALU_DEP_2)
	v_mul_hi_u32 v11, v1, v9
	v_mul_lo_u32 v12, v1, v8
	v_mul_hi_u32 v13, v1, v8
	v_mul_hi_u32 v14, v5, v9
	v_mul_lo_u32 v9, v5, v9
	v_mul_hi_u32 v15, v5, v8
	v_mul_lo_u32 v8, v5, v8
	v_add_co_u32 v11, vcc_lo, v11, v12
	v_add_co_ci_u32_e32 v12, vcc_lo, 0, v13, vcc_lo
	s_delay_alu instid0(VALU_DEP_2) | instskip(NEXT) | instid1(VALU_DEP_2)
	v_add_co_u32 v9, vcc_lo, v11, v9
	v_add_co_ci_u32_e32 v9, vcc_lo, v12, v14, vcc_lo
	v_add_co_ci_u32_e32 v11, vcc_lo, 0, v15, vcc_lo
	s_delay_alu instid0(VALU_DEP_2) | instskip(NEXT) | instid1(VALU_DEP_2)
	v_add_co_u32 v8, vcc_lo, v9, v8
	v_add_co_ci_u32_e32 v9, vcc_lo, 0, v11, vcc_lo
	s_delay_alu instid0(VALU_DEP_2) | instskip(NEXT) | instid1(VALU_DEP_2)
	v_add_co_u32 v1, vcc_lo, v1, v8
	v_add_co_ci_u32_e32 v5, vcc_lo, v5, v9, vcc_lo
	s_delay_alu instid0(VALU_DEP_2) | instskip(SKIP_1) | instid1(VALU_DEP_3)
	v_mul_hi_u32 v8, s2, v1
	v_mul_lo_u32 v11, s22, v1
	v_mul_lo_u32 v9, s2, v5
	s_delay_alu instid0(VALU_DEP_1) | instskip(SKIP_1) | instid1(VALU_DEP_2)
	v_add_nc_u32_e32 v8, v8, v9
	v_mul_lo_u32 v9, s2, v1
	v_add_nc_u32_e32 v8, v8, v11
	s_delay_alu instid0(VALU_DEP_2) | instskip(NEXT) | instid1(VALU_DEP_2)
	v_mul_hi_u32 v11, v1, v9
	v_mul_lo_u32 v12, v1, v8
	v_mul_hi_u32 v13, v1, v8
	v_mul_hi_u32 v14, v5, v9
	v_mul_lo_u32 v9, v5, v9
	v_mul_hi_u32 v15, v5, v8
	v_mul_lo_u32 v8, v5, v8
	v_add_co_u32 v11, vcc_lo, v11, v12
	v_add_co_ci_u32_e32 v12, vcc_lo, 0, v13, vcc_lo
	s_delay_alu instid0(VALU_DEP_2) | instskip(NEXT) | instid1(VALU_DEP_2)
	v_add_co_u32 v9, vcc_lo, v11, v9
	v_add_co_ci_u32_e32 v9, vcc_lo, v12, v14, vcc_lo
	v_add_co_ci_u32_e32 v11, vcc_lo, 0, v15, vcc_lo
	s_delay_alu instid0(VALU_DEP_2) | instskip(NEXT) | instid1(VALU_DEP_2)
	v_add_co_u32 v8, vcc_lo, v9, v8
	v_add_co_ci_u32_e32 v9, vcc_lo, 0, v11, vcc_lo
	s_delay_alu instid0(VALU_DEP_2) | instskip(NEXT) | instid1(VALU_DEP_2)
	v_add_co_u32 v1, vcc_lo, v1, v8
	v_add_co_ci_u32_e32 v5, vcc_lo, v5, v9, vcc_lo
	s_delay_alu instid0(VALU_DEP_2) | instskip(SKIP_1) | instid1(VALU_DEP_3)
	v_mul_hi_u32 v15, v6, v1
	v_mad_u64_u32 v[11:12], null, v7, v1, 0
	v_mad_u64_u32 v[8:9], null, v6, v5, 0
	;; [unrolled: 1-line block ×3, first 2 shown]
	s_delay_alu instid0(VALU_DEP_2) | instskip(NEXT) | instid1(VALU_DEP_3)
	v_add_co_u32 v1, vcc_lo, v15, v8
	v_add_co_ci_u32_e32 v5, vcc_lo, 0, v9, vcc_lo
	s_delay_alu instid0(VALU_DEP_2) | instskip(NEXT) | instid1(VALU_DEP_2)
	v_add_co_u32 v1, vcc_lo, v1, v11
	v_add_co_ci_u32_e32 v1, vcc_lo, v5, v12, vcc_lo
	v_add_co_ci_u32_e32 v5, vcc_lo, 0, v14, vcc_lo
	s_delay_alu instid0(VALU_DEP_2) | instskip(NEXT) | instid1(VALU_DEP_2)
	v_add_co_u32 v1, vcc_lo, v1, v13
	v_add_co_ci_u32_e32 v5, vcc_lo, 0, v5, vcc_lo
	s_delay_alu instid0(VALU_DEP_2) | instskip(SKIP_1) | instid1(VALU_DEP_3)
	v_mul_lo_u32 v11, s21, v1
	v_mad_u64_u32 v[8:9], null, s20, v1, 0
	v_mul_lo_u32 v12, s20, v5
	s_delay_alu instid0(VALU_DEP_2) | instskip(NEXT) | instid1(VALU_DEP_2)
	v_sub_co_u32 v8, vcc_lo, v6, v8
	v_add3_u32 v9, v9, v12, v11
	s_delay_alu instid0(VALU_DEP_1) | instskip(NEXT) | instid1(VALU_DEP_1)
	v_sub_nc_u32_e32 v11, v7, v9
	v_subrev_co_ci_u32_e64 v11, s2, s21, v11, vcc_lo
	v_add_co_u32 v12, s2, v1, 2
	s_delay_alu instid0(VALU_DEP_1) | instskip(SKIP_3) | instid1(VALU_DEP_3)
	v_add_co_ci_u32_e64 v13, s2, 0, v5, s2
	v_sub_co_u32 v14, s2, v8, s20
	v_sub_co_ci_u32_e32 v9, vcc_lo, v7, v9, vcc_lo
	v_subrev_co_ci_u32_e64 v11, s2, 0, v11, s2
	v_cmp_le_u32_e32 vcc_lo, s20, v14
	s_delay_alu instid0(VALU_DEP_3) | instskip(SKIP_1) | instid1(VALU_DEP_4)
	v_cmp_eq_u32_e64 s2, s21, v9
	v_cndmask_b32_e64 v14, 0, -1, vcc_lo
	v_cmp_le_u32_e32 vcc_lo, s21, v11
	v_cndmask_b32_e64 v15, 0, -1, vcc_lo
	v_cmp_le_u32_e32 vcc_lo, s20, v8
	;; [unrolled: 2-line block ×3, first 2 shown]
	v_cndmask_b32_e64 v16, 0, -1, vcc_lo
	v_cmp_eq_u32_e32 vcc_lo, s21, v11
	s_delay_alu instid0(VALU_DEP_2) | instskip(SKIP_3) | instid1(VALU_DEP_3)
	v_cndmask_b32_e64 v8, v16, v8, s2
	v_cndmask_b32_e32 v11, v15, v14, vcc_lo
	v_add_co_u32 v14, vcc_lo, v1, 1
	v_add_co_ci_u32_e32 v15, vcc_lo, 0, v5, vcc_lo
	v_cmp_ne_u32_e32 vcc_lo, 0, v11
	s_delay_alu instid0(VALU_DEP_3) | instskip(NEXT) | instid1(VALU_DEP_3)
	v_cndmask_b32_e32 v11, v14, v12, vcc_lo
	v_cndmask_b32_e32 v9, v15, v13, vcc_lo
	v_cmp_ne_u32_e32 vcc_lo, 0, v8
	s_delay_alu instid0(VALU_DEP_3) | instskip(NEXT) | instid1(VALU_DEP_3)
	v_cndmask_b32_e32 v8, v1, v11, vcc_lo
	v_cndmask_b32_e32 v9, v5, v9, vcc_lo
.LBB0_4:                                ;   in Loop: Header=BB0_2 Depth=1
	s_and_not1_saveexec_b32 s2, s3
	s_cbranch_execz .LBB0_6
; %bb.5:                                ;   in Loop: Header=BB0_2 Depth=1
	v_cvt_f32_u32_e32 v1, s20
	s_sub_i32 s3, 0, s20
	s_delay_alu instid0(VALU_DEP_1) | instskip(SKIP_2) | instid1(VALU_DEP_1)
	v_rcp_iflag_f32_e32 v1, v1
	s_waitcnt_depctr 0xfff
	v_mul_f32_e32 v1, 0x4f7ffffe, v1
	v_cvt_u32_f32_e32 v1, v1
	s_delay_alu instid0(VALU_DEP_1) | instskip(NEXT) | instid1(VALU_DEP_1)
	v_mul_lo_u32 v5, s3, v1
	v_mul_hi_u32 v5, v1, v5
	s_delay_alu instid0(VALU_DEP_1) | instskip(NEXT) | instid1(VALU_DEP_1)
	v_add_nc_u32_e32 v1, v1, v5
	v_mul_hi_u32 v1, v6, v1
	s_delay_alu instid0(VALU_DEP_1) | instskip(SKIP_1) | instid1(VALU_DEP_2)
	v_mul_lo_u32 v5, v1, s20
	v_add_nc_u32_e32 v8, 1, v1
	v_sub_nc_u32_e32 v5, v6, v5
	s_delay_alu instid0(VALU_DEP_1) | instskip(SKIP_1) | instid1(VALU_DEP_2)
	v_subrev_nc_u32_e32 v9, s20, v5
	v_cmp_le_u32_e32 vcc_lo, s20, v5
	v_cndmask_b32_e32 v5, v5, v9, vcc_lo
	v_mov_b32_e32 v9, v4
	v_cndmask_b32_e32 v1, v1, v8, vcc_lo
	s_delay_alu instid0(VALU_DEP_3) | instskip(NEXT) | instid1(VALU_DEP_2)
	v_cmp_le_u32_e32 vcc_lo, s20, v5
	v_add_nc_u32_e32 v8, 1, v1
	s_delay_alu instid0(VALU_DEP_1)
	v_cndmask_b32_e32 v8, v1, v8, vcc_lo
.LBB0_6:                                ;   in Loop: Header=BB0_2 Depth=1
	s_or_b32 exec_lo, exec_lo, s2
	s_load_b64 s[2:3], s[14:15], 0x0
	v_mul_lo_u32 v1, v9, s20
	s_delay_alu instid0(VALU_DEP_2)
	v_mul_lo_u32 v5, v8, s21
	v_mad_u64_u32 v[11:12], null, v8, s20, 0
	s_add_u32 s18, s18, 1
	s_addc_u32 s19, s19, 0
	s_add_u32 s14, s14, 8
	s_addc_u32 s15, s15, 0
	;; [unrolled: 2-line block ×3, first 2 shown]
	s_delay_alu instid0(VALU_DEP_1) | instskip(SKIP_1) | instid1(VALU_DEP_2)
	v_add3_u32 v1, v12, v5, v1
	v_sub_co_u32 v11, vcc_lo, v6, v11
	v_sub_co_ci_u32_e32 v1, vcc_lo, v7, v1, vcc_lo
	s_waitcnt lgkmcnt(0)
	s_delay_alu instid0(VALU_DEP_2) | instskip(NEXT) | instid1(VALU_DEP_2)
	v_mul_lo_u32 v7, s3, v11
	v_mul_lo_u32 v1, s2, v1
	v_mad_u64_u32 v[5:6], null, s2, v11, v[2:3]
	v_cmp_ge_u64_e64 s2, s[18:19], s[6:7]
	s_delay_alu instid0(VALU_DEP_1) | instskip(NEXT) | instid1(VALU_DEP_2)
	s_and_b32 vcc_lo, exec_lo, s2
	v_add3_u32 v3, v7, v6, v1
	s_delay_alu instid0(VALU_DEP_3)
	v_mov_b32_e32 v2, v5
	s_cbranch_vccnz .LBB0_9
; %bb.7:                                ;   in Loop: Header=BB0_2 Depth=1
	v_dual_mov_b32 v6, v8 :: v_dual_mov_b32 v7, v9
	s_branch .LBB0_2
.LBB0_8:
	v_dual_mov_b32 v9, v7 :: v_dual_mov_b32 v8, v6
.LBB0_9:
	s_lshl_b64 s[2:3], s[6:7], 3
	v_dual_mov_b32 v5, 0 :: v_dual_and_b32 v4, 15, v0
	s_add_u32 s2, s12, s2
	s_addc_u32 s3, s13, s3
	s_load_b64 s[2:3], s[2:3], 0x0
	s_load_b64 s[0:1], s[0:1], 0x20
	v_dual_mov_b32 v14, 0 :: v_dual_mov_b32 v23, 0
	v_dual_mov_b32 v6, 0 :: v_dual_mov_b32 v11, 0
	v_dual_mov_b32 v25, 0 :: v_dual_mov_b32 v18, 0
	v_mov_b32_e32 v17, 0
	v_dual_mov_b32 v7, 0 :: v_dual_mov_b32 v22, 0
	v_dual_mov_b32 v15, 0 :: v_dual_mov_b32 v12, 0
	;; [unrolled: 1-line block ×3, first 2 shown]
	v_mov_b32_e32 v20, 0
                                        ; implicit-def: $vgpr33
                                        ; implicit-def: $vgpr28
                                        ; implicit-def: $vgpr35
                                        ; implicit-def: $vgpr21
                                        ; implicit-def: $vgpr29
                                        ; implicit-def: $vgpr36
                                        ; implicit-def: $vgpr32
                                        ; implicit-def: $vgpr27
                                        ; implicit-def: $vgpr34
                                        ; implicit-def: $vgpr31
                                        ; implicit-def: $vgpr30
                                        ; implicit-def: $vgpr26
	s_waitcnt lgkmcnt(0)
	v_mul_lo_u32 v16, s2, v9
	v_mul_lo_u32 v19, s3, v8
	v_mad_u64_u32 v[0:1], null, s2, v8, v[2:3]
	v_mov_b32_e32 v3, 0
	v_cmp_gt_u64_e32 vcc_lo, s[0:1], v[8:9]
	v_mov_b32_e32 v2, 0
                                        ; implicit-def: $vgpr8
                                        ; implicit-def: $vgpr9
	s_delay_alu instid0(VALU_DEP_4)
	v_add3_u32 v1, v19, v1, v16
                                        ; implicit-def: $vgpr16
                                        ; implicit-def: $vgpr19
	s_and_saveexec_b32 s1, vcc_lo
	s_cbranch_execz .LBB0_13
; %bb.10:
	v_cmp_gt_u32_e64 s0, 10, v4
	v_dual_mov_b32 v3, 0 :: v_dual_mov_b32 v20, 0
	v_dual_mov_b32 v13, 0 :: v_dual_mov_b32 v24, 0
	;; [unrolled: 1-line block ×8, first 2 shown]
                                        ; implicit-def: $vgpr26
                                        ; implicit-def: $vgpr30
                                        ; implicit-def: $vgpr31
                                        ; implicit-def: $vgpr34
                                        ; implicit-def: $vgpr27
                                        ; implicit-def: $vgpr32
                                        ; implicit-def: $vgpr19
                                        ; implicit-def: $vgpr36
                                        ; implicit-def: $vgpr9
                                        ; implicit-def: $vgpr29
                                        ; implicit-def: $vgpr21
                                        ; implicit-def: $vgpr35
                                        ; implicit-def: $vgpr28
                                        ; implicit-def: $vgpr33
                                        ; implicit-def: $vgpr8
                                        ; implicit-def: $vgpr16
	s_and_saveexec_b32 s2, s0
	s_cbranch_execz .LBB0_12
; %bb.11:
	v_mad_u64_u32 v[2:3], null, s8, v4, 0
	v_add_nc_u32_e32 v17, 10, v4
	v_lshlrev_b64 v[11:12], 2, v[0:1]
	v_add_nc_u32_e32 v19, 30, v4
	v_add_nc_u32_e32 v25, 60, v4
	v_add_nc_u32_e32 v22, 50, v4
	v_mad_u64_u32 v[5:6], null, s8, v17, 0
	v_mad_u64_u32 v[7:8], null, s9, v4, v[3:4]
	v_add_nc_u32_e32 v18, 20, v4
	v_mad_u64_u32 v[13:14], null, s8, v19, 0
	v_add_co_u32 v37, s0, s10, v11
	s_delay_alu instid0(VALU_DEP_1) | instskip(SKIP_3) | instid1(VALU_DEP_3)
	v_add_co_ci_u32_e64 v38, s0, s11, v12, s0
	v_mov_b32_e32 v3, v7
	v_mad_u64_u32 v[8:9], null, s8, v18, 0
	v_add_nc_u32_e32 v20, 40, v4
	v_lshlrev_b64 v[2:3], 2, v[2:3]
	s_delay_alu instid0(VALU_DEP_3) | instskip(NEXT) | instid1(VALU_DEP_2)
	v_mov_b32_e32 v7, v9
	v_add_co_u32 v2, s0, v37, v2
	s_delay_alu instid0(VALU_DEP_1) | instskip(NEXT) | instid1(VALU_DEP_3)
	v_add_co_ci_u32_e64 v3, s0, v38, v3, s0
	v_mad_u64_u32 v[15:16], null, s9, v17, v[6:7]
	v_mad_u64_u32 v[11:12], null, s9, v18, v[7:8]
	s_delay_alu instid0(VALU_DEP_2) | instskip(NEXT) | instid1(VALU_DEP_1)
	v_dual_mov_b32 v7, v14 :: v_dual_mov_b32 v6, v15
	v_mad_u64_u32 v[14:15], null, s9, v19, v[7:8]
	s_delay_alu instid0(VALU_DEP_3) | instskip(SKIP_1) | instid1(VALU_DEP_4)
	v_mov_b32_e32 v9, v11
	v_mad_u64_u32 v[11:12], null, s8, v20, 0
	v_lshlrev_b64 v[5:6], 2, v[5:6]
	s_delay_alu instid0(VALU_DEP_1) | instskip(NEXT) | instid1(VALU_DEP_1)
	v_add_co_u32 v15, s0, v37, v5
	v_add_co_ci_u32_e64 v16, s0, v38, v6, s0
	v_lshlrev_b64 v[5:6], 2, v[8:9]
	v_mad_u64_u32 v[8:9], null, s8, v22, 0
	v_mov_b32_e32 v7, v12
	s_delay_alu instid0(VALU_DEP_1) | instskip(NEXT) | instid1(VALU_DEP_4)
	v_mad_u64_u32 v[17:18], null, s9, v20, v[7:8]
	v_add_co_u32 v18, s0, v37, v5
	s_delay_alu instid0(VALU_DEP_4)
	v_mov_b32_e32 v7, v9
	v_add_co_ci_u32_e64 v19, s0, v38, v6, s0
	v_lshlrev_b64 v[5:6], 2, v[13:14]
	v_mad_u64_u32 v[13:14], null, s8, v25, 0
	v_mov_b32_e32 v12, v17
	v_mad_u64_u32 v[20:21], null, s9, v22, v[7:8]
	v_add_nc_u32_e32 v17, 0x46, v4
	v_add_co_u32 v21, s0, v37, v5
	s_delay_alu instid0(VALU_DEP_1)
	v_add_co_ci_u32_e64 v22, s0, v38, v6, s0
	v_lshlrev_b64 v[5:6], 2, v[11:12]
	v_mov_b32_e32 v7, v14
	v_mad_u64_u32 v[11:12], null, s8, v17, 0
	v_mov_b32_e32 v9, v20
	v_or_b32_e32 v20, 0x50, v4
	s_delay_alu instid0(VALU_DEP_4) | instskip(SKIP_1) | instid1(VALU_DEP_1)
	v_mad_u64_u32 v[23:24], null, s9, v25, v[7:8]
	v_add_co_u32 v24, s0, v37, v5
	v_add_co_ci_u32_e64 v25, s0, v38, v6, s0
	v_lshlrev_b64 v[6:7], 2, v[8:9]
	v_mov_b32_e32 v5, v12
	v_mad_u64_u32 v[26:27], null, s8, v20, 0
	v_mov_b32_e32 v14, v23
	s_delay_alu instid0(VALU_DEP_3) | instskip(SKIP_2) | instid1(VALU_DEP_1)
	v_mad_u64_u32 v[8:9], null, s9, v17, v[5:6]
	v_add_nc_u32_e32 v17, 0x5a, v4
	v_add_co_u32 v28, s0, v37, v6
	v_add_co_ci_u32_e64 v29, s0, v38, v7, s0
	s_delay_alu instid0(VALU_DEP_4) | instskip(NEXT) | instid1(VALU_DEP_4)
	v_dual_mov_b32 v7, v27 :: v_dual_mov_b32 v12, v8
	v_mad_u64_u32 v[8:9], null, s8, v17, 0
	v_lshlrev_b64 v[5:6], 2, v[13:14]
	s_delay_alu instid0(VALU_DEP_3) | instskip(NEXT) | instid1(VALU_DEP_3)
	v_lshlrev_b64 v[11:12], 2, v[11:12]
	v_mad_u64_u32 v[13:14], null, s9, v20, v[7:8]
	s_delay_alu instid0(VALU_DEP_3) | instskip(SKIP_3) | instid1(VALU_DEP_1)
	v_add_co_u32 v30, s0, v37, v5
	v_mov_b32_e32 v5, v9
	v_add_co_ci_u32_e64 v31, s0, v38, v6, s0
	v_add_co_u32 v32, s0, v37, v11
	v_add_co_ci_u32_e64 v33, s0, v38, v12, s0
	v_mov_b32_e32 v27, v13
	v_mad_u64_u32 v[34:35], null, s9, v17, v[5:6]
	s_clause 0x7
	global_load_b32 v6, v[2:3], off
	global_load_b32 v11, v[15:16], off
	;; [unrolled: 1-line block ×8, first 2 shown]
	v_add_nc_u32_e32 v20, 0x64, v4
	v_add_nc_u32_e32 v16, 0x6e, v4
	;; [unrolled: 1-line block ×3, first 2 shown]
	v_lshlrev_b64 v[14:15], 2, v[26:27]
	s_delay_alu instid0(VALU_DEP_4) | instskip(NEXT) | instid1(VALU_DEP_3)
	v_mad_u64_u32 v[35:36], null, s8, v20, 0
	v_mad_u64_u32 v[21:22], null, s8, v28, 0
	v_mov_b32_e32 v9, v34
	s_delay_alu instid0(VALU_DEP_4) | instskip(NEXT) | instid1(VALU_DEP_1)
	v_add_co_u32 v14, s0, v37, v14
	v_add_co_ci_u32_e64 v15, s0, v38, v15, s0
	v_mov_b32_e32 v5, v36
	s_delay_alu instid0(VALU_DEP_4) | instskip(NEXT) | instid1(VALU_DEP_1)
	v_lshlrev_b64 v[8:9], 2, v[8:9]
	v_add_co_u32 v26, s0, v37, v8
	s_delay_alu instid0(VALU_DEP_1) | instskip(SKIP_3) | instid1(VALU_DEP_2)
	v_add_co_ci_u32_e64 v27, s0, v38, v9, s0
	s_waitcnt vmcnt(7)
	v_mad_u64_u32 v[18:19], null, s9, v20, v[5:6]
	v_mad_u64_u32 v[19:20], null, s8, v16, 0
	v_mov_b32_e32 v36, v18
	s_delay_alu instid0(VALU_DEP_2) | instskip(NEXT) | instid1(VALU_DEP_2)
	v_dual_mov_b32 v5, v20 :: v_dual_add_nc_u32 v18, 0x82, v4
	v_lshlrev_b64 v[8:9], 2, v[35:36]
	s_delay_alu instid0(VALU_DEP_2) | instskip(SKIP_1) | instid1(VALU_DEP_4)
	v_mad_u64_u32 v[23:24], null, s9, v16, v[5:6]
	v_add_nc_u32_e32 v16, 0x8c, v4
	v_mad_u64_u32 v[24:25], null, s8, v18, 0
	v_mov_b32_e32 v5, v22
	v_add_co_u32 v33, s0, v37, v8
	v_mov_b32_e32 v20, v23
	v_add_co_ci_u32_e64 v34, s0, v38, v9, s0
	s_delay_alu instid0(VALU_DEP_4) | instskip(SKIP_4) | instid1(VALU_DEP_4)
	v_mad_u64_u32 v[22:23], null, s9, v28, v[5:6]
	v_mov_b32_e32 v5, v25
	v_add_nc_u32_e32 v23, 0x96, v4
	v_mad_u64_u32 v[28:29], null, s8, v16, 0
	v_lshlrev_b64 v[8:9], 2, v[19:20]
	v_mad_u64_u32 v[30:31], null, s9, v18, v[5:6]
	s_delay_alu instid0(VALU_DEP_4) | instskip(NEXT) | instid1(VALU_DEP_4)
	v_mad_u64_u32 v[31:32], null, s8, v23, 0
	v_mov_b32_e32 v5, v29
	s_delay_alu instid0(VALU_DEP_3) | instskip(NEXT) | instid1(VALU_DEP_2)
	v_mov_b32_e32 v25, v30
	v_mad_u64_u32 v[18:19], null, s9, v16, v[5:6]
	s_delay_alu instid0(VALU_DEP_4) | instskip(SKIP_1) | instid1(VALU_DEP_1)
	v_mov_b32_e32 v5, v32
	v_add_co_u32 v19, s0, v37, v8
	v_add_co_ci_u32_e64 v20, s0, v38, v9, s0
	v_lshlrev_b64 v[8:9], 2, v[21:22]
	s_delay_alu instid0(VALU_DEP_4)
	v_mad_u64_u32 v[21:22], null, s9, v23, v[5:6]
	v_mov_b32_e32 v29, v18
	v_lshlrev_b64 v[22:23], 2, v[24:25]
	s_waitcnt vmcnt(4)
	v_lshrrev_b32_e32 v18, 16, v7
	v_add_co_u32 v24, s0, v37, v8
	s_delay_alu instid0(VALU_DEP_1) | instskip(SKIP_3) | instid1(VALU_DEP_1)
	v_add_co_ci_u32_e64 v25, s0, v38, v9, s0
	v_mov_b32_e32 v32, v21
	v_lshlrev_b64 v[8:9], 2, v[28:29]
	v_add_co_u32 v22, s0, v37, v22
	v_add_co_ci_u32_e64 v23, s0, v38, v23, s0
	s_delay_alu instid0(VALU_DEP_4) | instskip(NEXT) | instid1(VALU_DEP_4)
	v_lshlrev_b64 v[28:29], 2, v[31:32]
	v_add_co_u32 v30, s0, v37, v8
	s_delay_alu instid0(VALU_DEP_1) | instskip(NEXT) | instid1(VALU_DEP_3)
	v_add_co_ci_u32_e64 v31, s0, v38, v9, s0
	v_add_co_u32 v35, s0, v37, v28
	s_delay_alu instid0(VALU_DEP_1)
	v_add_co_ci_u32_e64 v36, s0, v38, v29, s0
	s_clause 0x7
	global_load_b32 v8, v[14:15], off
	global_load_b32 v28, v[26:27], off
	global_load_b32 v21, v[33:34], off
	global_load_b32 v9, v[19:20], off
	global_load_b32 v19, v[24:25], off
	global_load_b32 v27, v[22:23], off
	global_load_b32 v31, v[30:31], off
	global_load_b32 v26, v[35:36], off
	v_lshrrev_b32_e32 v14, 16, v6
	v_lshrrev_b32_e32 v23, 16, v11
	;; [unrolled: 1-line block ×3, first 2 shown]
	s_waitcnt vmcnt(11)
	v_lshrrev_b32_e32 v15, 16, v2
	s_waitcnt vmcnt(10)
	v_lshrrev_b32_e32 v22, 16, v12
	;; [unrolled: 2-line block ×12, first 2 shown]
.LBB0_12:
	s_or_b32 exec_lo, exec_lo, s2
	v_mov_b32_e32 v5, v4
.LBB0_13:
	s_or_b32 exec_lo, exec_lo, s1
	v_sub_f16_e32 v37, v17, v21
	v_sub_f16_e32 v35, v25, v35
	v_mul_u32_u24_e32 v39, 0xa0, v10
	v_sub_f16_e32 v31, v13, v31
	v_sub_f16_e32 v27, v12, v27
	v_fma_f16 v10, v17, 2.0, -v37
	v_fma_f16 v17, v25, 2.0, -v35
	v_sub_f16_e32 v25, v24, v34
	v_sub_f16_e32 v34, v11, v28
	v_fma_f16 v13, v13, 2.0, -v31
	v_sub_f16_e32 v32, v22, v32
	v_fma_f16 v12, v12, 2.0, -v27
	;; [unrolled: 2-line block ×4, first 2 shown]
	v_sub_f16_e32 v9, v7, v9
	v_sub_f16_e32 v29, v18, v29
	;; [unrolled: 1-line block ×4, first 2 shown]
	v_fma_f16 v30, v22, 2.0, -v32
	v_sub_f16_e32 v22, v10, v13
	v_sub_f16_e32 v13, v37, v25
	;; [unrolled: 1-line block ×3, first 2 shown]
	v_fma_f16 v23, v23, 2.0, -v33
	v_fma_f16 v7, v7, 2.0, -v9
	;; [unrolled: 1-line block ×5, first 2 shown]
	v_sub_f16_e32 v28, v17, v24
	v_add_f16_e32 v24, v35, v31
	v_fma_f16 v25, v37, 2.0, -v13
	v_sub_f16_e32 v37, v34, v32
	v_fma_f16 v3, v11, 2.0, -v12
	v_add_f16_e32 v11, v33, v27
	v_add_f16_e32 v41, v29, v26
	v_sub_f16_e32 v31, v23, v30
	v_fma_f16 v32, v35, 2.0, -v24
	v_fma_f16 v27, v34, 2.0, -v37
	v_sub_f16_e32 v34, v7, v38
	v_sub_f16_e32 v35, v18, v20
	;; [unrolled: 1-line block ×3, first 2 shown]
	v_fma_f16 v33, v33, 2.0, -v11
	v_fma_f16 v29, v29, 2.0, -v41
	v_fma_f16 v30, v23, 2.0, -v31
	v_fma_f16 v7, v7, 2.0, -v34
	v_fma_f16 v26, v18, 2.0, -v35
	v_fma_f16 v9, v9, 2.0, -v36
	v_fmamk_f16 v20, v29, 0xb9a8, v33
	v_mul_f16_e32 v40, 0x39a8, v32
	v_mul_f16_e32 v43, 0x39a8, v24
	v_sub_f16_e32 v24, v3, v7
	v_fmamk_f16 v18, v9, 0xb9a8, v27
	v_sub_f16_e32 v42, v30, v26
	v_fmac_f16_e32 v20, 0x39a8, v9
	v_fmamk_f16 v26, v36, 0x39a8, v37
	v_fmamk_f16 v32, v41, 0x39a8, v11
	v_sub_f16_e32 v7, v12, v35
	v_add_f16_e32 v9, v31, v34
	v_mul_f16_e32 v38, 0x39a8, v13
	v_fmac_f16_e32 v18, 0xb9a8, v29
	v_fmac_f16_e32 v26, 0xb9a8, v41
	;; [unrolled: 1-line block ×3, first 2 shown]
	v_fma_f16 v12, v12, 2.0, -v7
	v_fma_f16 v13, v31, 2.0, -v9
	v_sub_f16_e32 v19, v2, v19
	v_mul_f16_e32 v23, 0x39a8, v25
	v_fma_f16 v25, v27, 2.0, -v18
	v_fma_f16 v31, v33, 2.0, -v20
	;; [unrolled: 1-line block ×4, first 2 shown]
	v_mul_f16_e32 v33, 0x39a8, v12
	v_mul_f16_e32 v36, 0x39a8, v13
	;; [unrolled: 1-line block ×4, first 2 shown]
	v_cmp_gt_u32_e64 s0, 10, v4
	v_lshlrev_b32_e32 v27, 1, v39
	s_delay_alu instid0(VALU_DEP_2)
	s_and_saveexec_b32 s1, s0
	s_cbranch_execz .LBB0_15
; %bb.14:
	v_sub_f16_e32 v7, v6, v8
	v_fma_f16 v2, v2, 2.0, -v19
	v_fma_f16 v10, v10, 2.0, -v22
	;; [unrolled: 1-line block ×3, first 2 shown]
	v_lshlrev_b32_e32 v12, 5, v4
	v_sub_f16_e32 v8, v7, v21
	v_fma_f16 v6, v6, 2.0, -v7
	s_delay_alu instid0(VALU_DEP_3) | instskip(NEXT) | instid1(VALU_DEP_3)
	v_add3_u32 v12, 0, v12, v27
	v_fma_f16 v7, v7, 2.0, -v8
	v_add_f16_e32 v9, v8, v38
	s_delay_alu instid0(VALU_DEP_4) | instskip(NEXT) | instid1(VALU_DEP_3)
	v_sub_f16_e32 v2, v6, v2
	v_sub_f16_e32 v11, v7, v23
	s_delay_alu instid0(VALU_DEP_3) | instskip(NEXT) | instid1(VALU_DEP_3)
	v_sub_f16_e32 v9, v9, v43
	v_sub_f16_e32 v13, v2, v28
	v_fma_f16 v6, v6, 2.0, -v2
	s_delay_alu instid0(VALU_DEP_4) | instskip(NEXT) | instid1(VALU_DEP_4)
	v_sub_f16_e32 v11, v11, v40
	v_fma_f16 v8, v8, 2.0, -v9
	s_delay_alu instid0(VALU_DEP_4) | instskip(NEXT) | instid1(VALU_DEP_4)
	v_fma_f16 v2, v2, 2.0, -v13
	v_sub_f16_e32 v10, v6, v10
	v_fmamk_f16 v37, v26, 0x3b64, v9
	v_fma_f16 v7, v7, 2.0, -v11
	v_fmamk_f16 v44, v29, 0xb61f, v8
	v_sub_f16_e32 v46, v2, v33
	v_fma_f16 v6, v6, 2.0, -v10
	v_add_f16_e32 v39, v13, v35
	v_fmamk_f16 v48, v25, 0xbb64, v7
	v_fmamk_f16 v45, v18, 0x361f, v11
	v_fmac_f16_e32 v44, 0xbb64, v34
	v_sub_f16_e32 v46, v46, v36
	v_sub_f16_e32 v3, v6, v3
	v_fmac_f16_e32 v48, 0xb61f, v31
	v_fmac_f16_e32 v37, 0xb61f, v32
	v_sub_f16_e32 v39, v39, v41
	v_sub_f16_e32 v47, v10, v42
	v_fmac_f16_e32 v45, 0xbb64, v20
	v_fma_f16 v8, v8, 2.0, -v44
	v_fma_f16 v2, v2, 2.0, -v46
	;; [unrolled: 1-line block ×8, first 2 shown]
	v_pack_b32_f16 v2, v2, v8
	v_pack_b32_f16 v6, v6, v7
	;; [unrolled: 1-line block ×8, first 2 shown]
	ds_store_2addr_b32 v12, v6, v2 offset1:1
	ds_store_2addr_b32 v12, v8, v7 offset0:2 offset1:3
	ds_store_2addr_b32 v12, v3, v9 offset0:4 offset1:5
	;; [unrolled: 1-line block ×3, first 2 shown]
.LBB0_15:
	s_or_b32 exec_lo, exec_lo, s1
	v_lshlrev_b32_e32 v2, 1, v4
	s_waitcnt lgkmcnt(0)
	s_barrier
	buffer_gl0_inv
	v_add_nc_u32_e32 v44, 0, v2
	v_add3_u32 v39, 0, v27, v2
	s_delay_alu instid0(VALU_DEP_2)
	v_add_nc_u32_e32 v37, v44, v27
	ds_load_u16 v2, v39
	ds_load_u16 v3, v37 offset:32
	ds_load_u16 v7, v37 offset:64
	;; [unrolled: 1-line block ×9, first 2 shown]
	s_waitcnt lgkmcnt(0)
	s_barrier
	buffer_gl0_inv
	s_and_saveexec_b32 s1, s0
	s_cbranch_execz .LBB0_17
; %bb.16:
	v_sub_f16_e32 v16, v14, v16
	v_fma_f16 v15, v15, 2.0, -v21
	v_fma_f16 v17, v17, 2.0, -v28
	;; [unrolled: 1-line block ×3, first 2 shown]
	s_delay_alu instid0(VALU_DEP_4) | instskip(SKIP_1) | instid1(VALU_DEP_2)
	v_fma_f16 v14, v14, 2.0, -v16
	v_add_f16_e32 v19, v16, v19
	v_sub_f16_e32 v15, v14, v15
	s_delay_alu instid0(VALU_DEP_2) | instskip(SKIP_1) | instid1(VALU_DEP_3)
	v_fma_f16 v16, v16, 2.0, -v19
	v_add_f16_e32 v21, v19, v43
	v_fma_f16 v14, v14, 2.0, -v15
	s_delay_alu instid0(VALU_DEP_3) | instskip(SKIP_1) | instid1(VALU_DEP_4)
	v_sub_f16_e32 v30, v16, v40
	v_add_f16_e32 v22, v15, v22
	v_add_f16_e32 v21, v38, v21
	v_mul_u32_u24_e32 v38, 30, v4
	v_sub_f16_e32 v17, v14, v17
	v_add_f16_e32 v23, v23, v30
	v_fma_f16 v15, v15, 2.0, -v22
	v_fma_f16 v19, v19, 2.0, -v21
	v_fmamk_f16 v32, v32, 0x3b64, v21
	v_fma_f16 v14, v14, 2.0, -v17
	v_fma_f16 v16, v16, 2.0, -v23
	v_sub_f16_e32 v36, v15, v36
	v_fmamk_f16 v34, v34, 0xb61f, v19
	v_fmac_f16_e32 v32, 0x361f, v26
	v_sub_f16_e32 v26, v14, v28
	v_fmamk_f16 v28, v31, 0xbb64, v16
	v_add_f16_e32 v30, v22, v41
	v_fmamk_f16 v20, v20, 0x361f, v23
	v_add_f16_e32 v31, v33, v36
	v_fmac_f16_e32 v34, 0x3b64, v29
	v_fmac_f16_e32 v28, 0x361f, v25
	v_add_f16_e32 v24, v17, v24
	v_add_f16_e32 v30, v35, v30
	v_fmac_f16_e32 v20, 0x3b64, v18
	v_fma_f16 v14, v14, 2.0, -v26
	v_fma_f16 v15, v15, 2.0, -v31
	v_fma_f16 v19, v19, 2.0, -v34
	v_fma_f16 v16, v16, 2.0, -v28
	v_fma_f16 v17, v17, 2.0, -v24
	v_fma_f16 v18, v22, 2.0, -v30
	v_fma_f16 v22, v23, 2.0, -v20
	v_fma_f16 v21, v21, 2.0, -v32
	v_add3_u32 v23, v44, v38, v27
	v_pack_b32_f16 v15, v15, v19
	v_pack_b32_f16 v14, v14, v16
	;; [unrolled: 1-line block ×8, first 2 shown]
	ds_store_2addr_b32 v23, v14, v15 offset1:1
	ds_store_2addr_b32 v23, v17, v16 offset0:2 offset1:3
	ds_store_2addr_b32 v23, v18, v19 offset0:4 offset1:5
	;; [unrolled: 1-line block ×3, first 2 shown]
.LBB0_17:
	s_or_b32 exec_lo, exec_lo, s1
	s_waitcnt lgkmcnt(0)
	s_barrier
	buffer_gl0_inv
	s_and_saveexec_b32 s0, vcc_lo
	s_cbranch_execz .LBB0_19
; %bb.18:
	v_mul_u32_u24_e32 v4, 9, v4
	v_or_b32_e32 v43, 16, v5
	v_mad_u64_u32 v[22:23], null, s8, v5, 0
	v_or_b32_e32 v45, 48, v5
	v_or_b32_e32 v44, 32, v5
	s_delay_alu instid0(VALU_DEP_4)
	v_mad_u64_u32 v[24:25], null, s8, v43, 0
	v_lshlrev_b32_e32 v4, 2, v4
	v_lshlrev_b64 v[0:1], 2, v[0:1]
	s_clause 0x2
	global_load_b128 v[14:17], v4, s[4:5]
	global_load_b128 v[18:21], v4, s[4:5] offset:16
	global_load_b32 v49, v4, s[4:5] offset:32
	v_or_b32_e32 v46, 64, v5
	v_or_b32_e32 v47, 0x50, v5
	;; [unrolled: 1-line block ×4, first 2 shown]
	v_mad_u64_u32 v[28:29], null, s8, v45, 0
	v_mov_b32_e32 v4, v23
	v_mad_u64_u32 v[26:27], null, s8, v44, 0
	ds_load_u16 v50, v37 offset:64
	ds_load_u16 v51, v37 offset:224
	;; [unrolled: 1-line block ×7, first 2 shown]
	ds_load_u16 v57, v39
	ds_load_u16 v58, v37 offset:256
	ds_load_u16 v59, v37 offset:288
	v_mad_u64_u32 v[30:31], null, s8, v46, 0
	v_mad_u64_u32 v[32:33], null, s8, v47, 0
	;; [unrolled: 1-line block ×4, first 2 shown]
	v_add_co_u32 v63, vcc_lo, s10, v0
	v_or_b32_e32 v48, 0x60, v5
	v_add_co_ci_u32_e32 v64, vcc_lo, s11, v1, vcc_lo
	v_mad_u64_u32 v[0:1], null, s9, v5, v[4:5]
	v_mov_b32_e32 v1, v25
	v_or_b32_e32 v60, 0x70, v5
	v_mov_b32_e32 v5, v29
	v_mad_u64_u32 v[34:35], null, s8, v48, 0
	v_dual_mov_b32 v4, v27 :: v_dual_mov_b32 v25, v33
	v_mov_b32_e32 v23, v31
	v_mov_b32_e32 v31, v39
	;; [unrolled: 1-line block ×3, first 2 shown]
	v_mad_u64_u32 v[41:42], null, s9, v43, v[1:2]
	v_mad_u64_u32 v[36:37], null, s8, v60, 0
	;; [unrolled: 1-line block ×5, first 2 shown]
	v_mov_b32_e32 v23, v0
	v_mad_u64_u32 v[0:1], null, s9, v61, v[31:32]
	v_mov_b32_e32 v27, v35
	v_mad_u64_u32 v[44:45], null, s9, v47, v[25:26]
	v_mov_b32_e32 v25, v41
	v_mov_b32_e32 v29, v37
	v_lshlrev_b64 v[22:23], 2, v[22:23]
	v_mad_u64_u32 v[45:46], null, s9, v48, v[27:28]
	v_mov_b32_e32 v27, v42
	v_mov_b32_e32 v39, v0
	v_lshlrev_b64 v[0:1], 2, v[24:25]
	;; [unrolled: 4-line block ×3, first 2 shown]
	v_add_co_u32 v22, vcc_lo, v63, v22
	v_add_co_ci_u32_e32 v23, vcc_lo, v64, v23, vcc_lo
	v_lshlrev_b64 v[24:25], 2, v[28:29]
	v_add_co_u32 v0, vcc_lo, v63, v0
	v_mad_u64_u32 v[47:48], null, s9, v62, v[33:34]
	v_mov_b32_e32 v33, v44
	v_add_co_ci_u32_e32 v1, vcc_lo, v64, v1, vcc_lo
	v_lshlrev_b64 v[26:27], 2, v[30:31]
	v_add_co_u32 v4, vcc_lo, v63, v4
	v_mov_b32_e32 v35, v45
	v_add_co_ci_u32_e32 v5, vcc_lo, v64, v5, vcc_lo
	v_lshlrev_b64 v[28:29], 2, v[32:33]
	v_add_co_u32 v24, vcc_lo, v63, v24
	;; [unrolled: 4-line block ×3, first 2 shown]
	v_add_co_ci_u32_e32 v27, vcc_lo, v64, v27, vcc_lo
	v_lshlrev_b64 v[32:33], 2, v[36:37]
	v_add_co_u32 v28, vcc_lo, v63, v28
	v_mov_b32_e32 v41, v47
	v_add_co_ci_u32_e32 v29, vcc_lo, v64, v29, vcc_lo
	v_lshlrev_b64 v[34:35], 2, v[38:39]
	v_add_co_u32 v30, vcc_lo, v63, v30
	v_add_co_ci_u32_e32 v31, vcc_lo, v64, v31, vcc_lo
	v_lshlrev_b64 v[36:37], 2, v[40:41]
	v_add_co_u32 v32, vcc_lo, v63, v32
	v_add_co_ci_u32_e32 v33, vcc_lo, v64, v33, vcc_lo
	v_add_co_u32 v34, vcc_lo, v63, v34
	v_add_co_ci_u32_e32 v35, vcc_lo, v64, v35, vcc_lo
	;; [unrolled: 2-line block ×3, first 2 shown]
	s_waitcnt vmcnt(2)
	v_lshrrev_b32_e32 v39, 16, v15
	v_lshrrev_b32_e32 v40, 16, v16
	;; [unrolled: 1-line block ×3, first 2 shown]
	s_waitcnt vmcnt(1)
	v_lshrrev_b32_e32 v42, 16, v18
	v_lshrrev_b32_e32 v43, 16, v19
	;; [unrolled: 1-line block ×4, first 2 shown]
	s_waitcnt vmcnt(0)
	v_lshrrev_b32_e32 v46, 16, v49
	v_lshrrev_b32_e32 v38, 16, v14
	v_mul_f16_e32 v47, v7, v39
	v_mul_f16_e32 v48, v11, v41
	;; [unrolled: 1-line block ×4, first 2 shown]
	s_waitcnt lgkmcnt(4)
	v_mul_f16_e32 v62, v55, v40
	v_mul_f16_e32 v63, v53, v42
	s_waitcnt lgkmcnt(0)
	v_mul_f16_e32 v64, v59, v46
	v_mul_f16_e32 v65, v51, v45
	;; [unrolled: 1-line block ×12, first 2 shown]
	v_fmac_f16_e32 v47, v50, v15
	v_fmac_f16_e32 v48, v54, v17
	;; [unrolled: 1-line block ×4, first 2 shown]
	v_fma_f16 v6, v6, v16, -v62
	v_fma_f16 v8, v8, v18, -v63
	;; [unrolled: 1-line block ×4, first 2 shown]
	v_fmac_f16_e32 v40, v16, v55
	v_fmac_f16_e32 v46, v49, v59
	;; [unrolled: 1-line block ×4, first 2 shown]
	v_fma_f16 v11, v11, v17, -v41
	v_fma_f16 v12, v12, v19, -v43
	;; [unrolled: 1-line block ×5, first 2 shown]
	v_fmac_f16_e32 v38, v14, v56
	v_sub_f16_e32 v14, v47, v48
	v_sub_f16_e32 v15, v60, v61
	v_add_f16_e32 v18, v48, v61
	v_sub_f16_e32 v19, v6, v8
	v_sub_f16_e32 v20, v10, v9
	v_add_f16_e32 v21, v8, v9
	v_add_f16_e32 v51, v42, v45
	;; [unrolled: 1-line block ×4, first 2 shown]
	v_sub_f16_e32 v17, v7, v13
	v_sub_f16_e32 v39, v40, v46
	;; [unrolled: 1-line block ×7, first 2 shown]
	v_add_f16_e32 v54, v47, v60
	v_sub_f16_e32 v55, v8, v6
	v_sub_f16_e32 v56, v9, v10
	;; [unrolled: 1-line block ×3, first 2 shown]
	v_add_f16_e32 v64, v47, v57
	v_add_f16_e32 v40, v40, v38
	v_sub_f16_e32 v65, v7, v11
	v_sub_f16_e32 v69, v11, v7
	v_add_f16_e32 v71, v7, v13
	v_add_f16_e32 v7, v2, v7
	;; [unrolled: 1-line block ×4, first 2 shown]
	v_fma_f16 v15, -0.5, v18, v57
	v_add_f16_e32 v18, v19, v20
	v_fma_f16 v19, -0.5, v21, v3
	v_fma_f16 v21, -0.5, v51, v38
	;; [unrolled: 1-line block ×4, first 2 shown]
	v_sub_f16_e32 v16, v11, v12
	v_sub_f16_e32 v52, v48, v47
	;; [unrolled: 1-line block ×4, first 2 shown]
	v_add_f16_e32 v67, v11, v12
	v_sub_f16_e32 v68, v48, v61
	v_add_f16_e32 v20, v43, v44
	v_fma_f16 v44, -0.5, v54, v57
	v_add_f16_e32 v51, v55, v56
	v_add_f16_e32 v48, v48, v64
	;; [unrolled: 1-line block ×5, first 2 shown]
	v_fmamk_f16 v11, v39, 0xbb9c, v19
	v_fmamk_f16 v55, v50, 0x3b9c, v21
	;; [unrolled: 1-line block ×4, first 2 shown]
	v_fmac_f16_e32 v3, 0xbb9c, v41
	v_fmac_f16_e32 v21, 0xbb9c, v50
	;; [unrolled: 1-line block ×4, first 2 shown]
	v_sub_f16_e32 v47, v47, v60
	v_add_f16_e32 v43, v52, v53
	v_add_f16_e32 v52, v59, v62
	v_fma_f16 v53, -0.5, v67, v2
	v_fmamk_f16 v8, v17, 0x3b9c, v15
	v_fmac_f16_e32 v15, 0xbb9c, v17
	v_add_f16_e32 v48, v61, v48
	v_add_f16_e32 v40, v45, v40
	;; [unrolled: 1-line block ×4, first 2 shown]
	v_fmac_f16_e32 v55, 0x38b4, v49
	v_fmac_f16_e32 v58, 0x38b4, v50
	v_fmac_f16_e32 v3, 0x38b4, v39
	v_fmac_f16_e32 v21, 0xb8b4, v49
	v_fmac_f16_e32 v19, 0x38b4, v41
	v_fma_f16 v2, -0.5, v71, v2
	v_fmac_f16_e32 v38, 0xb8b4, v50
	v_fmac_f16_e32 v57, 0xb8b4, v39
	;; [unrolled: 1-line block ×3, first 2 shown]
	v_sub_f16_e32 v66, v13, v12
	v_sub_f16_e32 v70, v12, v13
	v_fmamk_f16 v56, v16, 0xbb9c, v44
	v_fmac_f16_e32 v44, 0x3b9c, v16
	v_fmamk_f16 v45, v47, 0xbb9c, v53
	v_fmac_f16_e32 v53, 0x3b9c, v47
	v_fmac_f16_e32 v8, 0x38b4, v16
	;; [unrolled: 1-line block ×3, first 2 shown]
	v_add_f16_e32 v9, v60, v48
	v_add_f16_e32 v12, v46, v40
	;; [unrolled: 1-line block ×4, first 2 shown]
	v_fmac_f16_e32 v55, 0x34f2, v20
	v_fmac_f16_e32 v58, 0x34f2, v52
	;; [unrolled: 1-line block ×5, first 2 shown]
	v_fmamk_f16 v59, v68, 0x3b9c, v2
	v_fmac_f16_e32 v2, 0xbb9c, v68
	v_fmac_f16_e32 v38, 0x34f2, v52
	;; [unrolled: 1-line block ×4, first 2 shown]
	v_add_f16_e32 v42, v65, v66
	v_fmac_f16_e32 v56, 0x38b4, v17
	v_fmac_f16_e32 v44, 0xb8b4, v17
	v_fmac_f16_e32 v53, 0x38b4, v68
	v_fmac_f16_e32 v8, 0x34f2, v14
	v_fmac_f16_e32 v15, 0x34f2, v14
	v_sub_f16_e32 v10, v9, v12
	v_sub_f16_e32 v13, v7, v6
	v_add_f16_e32 v9, v9, v12
	v_add_f16_e32 v6, v7, v6
	v_mul_f16_e32 v7, 0x3a79, v55
	v_mul_f16_e32 v12, 0x34f2, v58
	;; [unrolled: 1-line block ×5, first 2 shown]
	v_add_f16_e32 v54, v69, v70
	v_fmac_f16_e32 v2, 0x38b4, v47
	v_mul_f16_e32 v20, 0x3b9c, v38
	v_fmac_f16_e32 v59, 0xb8b4, v47
	v_mul_f16_e32 v18, 0x34f2, v57
	;; [unrolled: 2-line block ×3, first 2 shown]
	v_fmac_f16_e32 v56, 0x34f2, v43
	v_fmac_f16_e32 v44, 0x34f2, v43
	v_fmac_f16_e32 v53, 0x34f2, v42
	v_pack_b32_f16 v6, v6, v9
	v_pack_b32_f16 v9, v13, v10
	v_fma_f16 v7, v11, 0xb8b4, -v7
	v_fma_f16 v10, v57, 0xbb9c, -v12
	v_fmac_f16_e32 v14, 0x34f2, v38
	v_fmac_f16_e32 v16, 0x3a79, v21
	;; [unrolled: 1-line block ×6, first 2 shown]
	v_fma_f16 v12, v58, 0x3b9c, -v18
	v_fmac_f16_e32 v45, 0x34f2, v42
	v_fma_f16 v11, v55, 0x38b4, -v17
	global_store_b32 v[22:23], v6, off
	v_sub_f16_e32 v3, v8, v7
	v_sub_f16_e32 v6, v56, v10
	;; [unrolled: 1-line block ×4, first 2 shown]
	v_add_f16_e32 v7, v8, v7
	v_add_f16_e32 v8, v56, v10
	;; [unrolled: 1-line block ×5, first 2 shown]
	v_sub_f16_e32 v21, v2, v20
	v_add_f16_e32 v2, v2, v20
	v_sub_f16_e32 v19, v59, v12
	v_add_f16_e32 v12, v59, v12
	;; [unrolled: 2-line block ×3, first 2 shown]
	v_sub_f16_e32 v16, v53, v39
	v_pack_b32_f16 v14, v15, v14
	v_pack_b32_f16 v2, v2, v10
	;; [unrolled: 1-line block ×8, first 2 shown]
	s_clause 0x8
	global_store_b32 v[0:1], v14, off
	global_store_b32 v[4:5], v2, off
	;; [unrolled: 1-line block ×9, first 2 shown]
.LBB0_19:
	s_nop 0
	s_sendmsg sendmsg(MSG_DEALLOC_VGPRS)
	s_endpgm
	.section	.rodata,"a",@progbits
	.p2align	6, 0x0
	.amdhsa_kernel fft_rtc_fwd_len160_factors_16_10_wgs_256_tpt_16_halfLds_half_ip_CI_sbrr_dirReg
		.amdhsa_group_segment_fixed_size 0
		.amdhsa_private_segment_fixed_size 0
		.amdhsa_kernarg_size 88
		.amdhsa_user_sgpr_count 15
		.amdhsa_user_sgpr_dispatch_ptr 0
		.amdhsa_user_sgpr_queue_ptr 0
		.amdhsa_user_sgpr_kernarg_segment_ptr 1
		.amdhsa_user_sgpr_dispatch_id 0
		.amdhsa_user_sgpr_private_segment_size 0
		.amdhsa_wavefront_size32 1
		.amdhsa_uses_dynamic_stack 0
		.amdhsa_enable_private_segment 0
		.amdhsa_system_sgpr_workgroup_id_x 1
		.amdhsa_system_sgpr_workgroup_id_y 0
		.amdhsa_system_sgpr_workgroup_id_z 0
		.amdhsa_system_sgpr_workgroup_info 0
		.amdhsa_system_vgpr_workitem_id 0
		.amdhsa_next_free_vgpr 72
		.amdhsa_next_free_sgpr 23
		.amdhsa_reserve_vcc 1
		.amdhsa_float_round_mode_32 0
		.amdhsa_float_round_mode_16_64 0
		.amdhsa_float_denorm_mode_32 3
		.amdhsa_float_denorm_mode_16_64 3
		.amdhsa_dx10_clamp 1
		.amdhsa_ieee_mode 1
		.amdhsa_fp16_overflow 0
		.amdhsa_workgroup_processor_mode 1
		.amdhsa_memory_ordered 1
		.amdhsa_forward_progress 0
		.amdhsa_shared_vgpr_count 0
		.amdhsa_exception_fp_ieee_invalid_op 0
		.amdhsa_exception_fp_denorm_src 0
		.amdhsa_exception_fp_ieee_div_zero 0
		.amdhsa_exception_fp_ieee_overflow 0
		.amdhsa_exception_fp_ieee_underflow 0
		.amdhsa_exception_fp_ieee_inexact 0
		.amdhsa_exception_int_div_zero 0
	.end_amdhsa_kernel
	.text
.Lfunc_end0:
	.size	fft_rtc_fwd_len160_factors_16_10_wgs_256_tpt_16_halfLds_half_ip_CI_sbrr_dirReg, .Lfunc_end0-fft_rtc_fwd_len160_factors_16_10_wgs_256_tpt_16_halfLds_half_ip_CI_sbrr_dirReg
                                        ; -- End function
	.section	.AMDGPU.csdata,"",@progbits
; Kernel info:
; codeLenInByte = 6120
; NumSgprs: 25
; NumVgprs: 72
; ScratchSize: 0
; MemoryBound: 0
; FloatMode: 240
; IeeeMode: 1
; LDSByteSize: 0 bytes/workgroup (compile time only)
; SGPRBlocks: 3
; VGPRBlocks: 8
; NumSGPRsForWavesPerEU: 25
; NumVGPRsForWavesPerEU: 72
; Occupancy: 16
; WaveLimiterHint : 1
; COMPUTE_PGM_RSRC2:SCRATCH_EN: 0
; COMPUTE_PGM_RSRC2:USER_SGPR: 15
; COMPUTE_PGM_RSRC2:TRAP_HANDLER: 0
; COMPUTE_PGM_RSRC2:TGID_X_EN: 1
; COMPUTE_PGM_RSRC2:TGID_Y_EN: 0
; COMPUTE_PGM_RSRC2:TGID_Z_EN: 0
; COMPUTE_PGM_RSRC2:TIDIG_COMP_CNT: 0
	.text
	.p2alignl 7, 3214868480
	.fill 96, 4, 3214868480
	.type	__hip_cuid_9c040c74f057333a,@object ; @__hip_cuid_9c040c74f057333a
	.section	.bss,"aw",@nobits
	.globl	__hip_cuid_9c040c74f057333a
__hip_cuid_9c040c74f057333a:
	.byte	0                               ; 0x0
	.size	__hip_cuid_9c040c74f057333a, 1

	.ident	"AMD clang version 19.0.0git (https://github.com/RadeonOpenCompute/llvm-project roc-6.4.0 25133 c7fe45cf4b819c5991fe208aaa96edf142730f1d)"
	.section	".note.GNU-stack","",@progbits
	.addrsig
	.addrsig_sym __hip_cuid_9c040c74f057333a
	.amdgpu_metadata
---
amdhsa.kernels:
  - .args:
      - .actual_access:  read_only
        .address_space:  global
        .offset:         0
        .size:           8
        .value_kind:     global_buffer
      - .offset:         8
        .size:           8
        .value_kind:     by_value
      - .actual_access:  read_only
        .address_space:  global
        .offset:         16
        .size:           8
        .value_kind:     global_buffer
      - .actual_access:  read_only
        .address_space:  global
        .offset:         24
        .size:           8
        .value_kind:     global_buffer
      - .offset:         32
        .size:           8
        .value_kind:     by_value
      - .actual_access:  read_only
        .address_space:  global
        .offset:         40
        .size:           8
        .value_kind:     global_buffer
      - .actual_access:  read_only
        .address_space:  global
        .offset:         48
        .size:           8
        .value_kind:     global_buffer
      - .offset:         56
        .size:           4
        .value_kind:     by_value
      - .actual_access:  read_only
        .address_space:  global
        .offset:         64
        .size:           8
        .value_kind:     global_buffer
      - .actual_access:  read_only
        .address_space:  global
        .offset:         72
        .size:           8
        .value_kind:     global_buffer
      - .address_space:  global
        .offset:         80
        .size:           8
        .value_kind:     global_buffer
    .group_segment_fixed_size: 0
    .kernarg_segment_align: 8
    .kernarg_segment_size: 88
    .language:       OpenCL C
    .language_version:
      - 2
      - 0
    .max_flat_workgroup_size: 256
    .name:           fft_rtc_fwd_len160_factors_16_10_wgs_256_tpt_16_halfLds_half_ip_CI_sbrr_dirReg
    .private_segment_fixed_size: 0
    .sgpr_count:     25
    .sgpr_spill_count: 0
    .symbol:         fft_rtc_fwd_len160_factors_16_10_wgs_256_tpt_16_halfLds_half_ip_CI_sbrr_dirReg.kd
    .uniform_work_group_size: 1
    .uses_dynamic_stack: false
    .vgpr_count:     72
    .vgpr_spill_count: 0
    .wavefront_size: 32
    .workgroup_processor_mode: 1
amdhsa.target:   amdgcn-amd-amdhsa--gfx1100
amdhsa.version:
  - 1
  - 2
...

	.end_amdgpu_metadata
